;; amdgpu-corpus repo=zjin-lcf/HeCBench kind=compiled arch=gfx90a opt=O3
	.text
	.amdgcn_target "amdgcn-amd-amdhsa--gfx90a"
	.amdhsa_code_object_version 6
	.section	.text._Z15bilateralFilterILi3EEvPKfPfiifff,"axG",@progbits,_Z15bilateralFilterILi3EEvPKfPfiifff,comdat
	.protected	_Z15bilateralFilterILi3EEvPKfPfiifff ; -- Begin function _Z15bilateralFilterILi3EEvPKfPfiifff
	.globl	_Z15bilateralFilterILi3EEvPKfPfiifff
	.p2align	8
	.type	_Z15bilateralFilterILi3EEvPKfPfiifff,@function
_Z15bilateralFilterILi3EEvPKfPfiifff:   ; @_Z15bilateralFilterILi3EEvPKfPfiifff
; %bb.0:
	s_load_dword s0, s[4:5], 0x34
	s_load_dwordx4 s[12:15], s[4:5], 0x10
	v_and_b32_e32 v1, 0x3ff, v0
	v_bfe_u32 v0, v0, 10, 10
	s_waitcnt lgkmcnt(0)
	s_lshr_b32 s1, s0, 16
	s_and_b32 s0, s0, 0xffff
	s_mul_i32 s6, s6, s0
	s_mul_i32 s7, s7, s1
	v_add_u32_e32 v2, s6, v1
	v_add_u32_e32 v3, s7, v0
	v_cmp_gt_i32_e32 vcc, s12, v2
	v_cmp_gt_i32_e64 s[0:1], s13, v3
	s_and_b64 s[0:1], vcc, s[0:1]
	s_and_saveexec_b64 s[2:3], s[0:1]
	s_cbranch_execz .LBB0_8
; %bb.1:
	s_load_dwordx4 s[8:11], s[4:5], 0x0
	s_load_dword s0, s[4:5], 0x20
	v_mad_u64_u32 v[0:1], s[2:3], v3, s12, v[2:3]
	v_ashrrev_i32_e32 v1, 31, v0
	v_lshlrev_b64 v[0:1], 2, v[0:1]
	s_waitcnt lgkmcnt(0)
	v_mov_b32_e32 v7, s9
	v_add_co_u32_e32 v4, vcc, s8, v0
	v_addc_co_u32_e32 v5, vcc, v7, v1, vcc
	global_load_dword v9, v[4:5], off
	s_mov_b32 s1, s15
	v_pk_add_f32 v[4:5], s[0:1], s[0:1]
	s_mov_b32 s0, 0
	s_mov_b32 s1, s0
	s_add_i32 s2, s13, 1
	s_mov_b32 s3, -3
	v_pk_mov_b32 v[10:11], s[0:1], s[0:1] op_sel:[0,1]
	s_mov_b32 s4, 0x3fb8aa3b
	s_mov_b32 s5, 0xc2ce8ed0
	;; [unrolled: 1-line block ×3, first 2 shown]
	v_mov_b32_e32 v14, 0x7f800000
	s_branch .LBB0_3
.LBB0_2:                                ;   in Loop: Header=BB0_3 Depth=1
	s_add_i32 s3, s3, 1
	s_cmp_eq_u32 s3, 4
	s_cbranch_scc1 .LBB0_7
.LBB0_3:                                ; =>This Loop Header: Depth=1
                                        ;     Child Loop BB0_5 Depth 2
	v_add_u32_e32 v6, s3, v2
	v_sub_u32_e32 v8, 0, v6
	s_not_b32 s0, s3
	v_max_i32_e32 v6, v6, v8
	s_add_i32 s0, s0, s12
	v_mov_b32_e32 v8, s0
	v_cmp_gt_i32_e32 vcc, s12, v6
	v_cndmask_b32_e32 v6, v8, v6, vcc
	v_sub_u32_e32 v8, v6, v2
	v_mul_lo_u32 v8, v8, v8
	s_mov_b32 s7, -6
	s_mov_b32 s9, s2
	v_pk_mov_b32 v[12:13], v[10:11], v[10:11] op_sel:[0,1]
	s_branch .LBB0_5
.LBB0_4:                                ;   in Loop: Header=BB0_3 Depth=1
                                        ; implicit-def: $vgpr12_vgpr13
                                        ; implicit-def: $sgpr9
                                        ; implicit-def: $sgpr7
	s_branch .LBB0_2
.LBB0_5:                                ;   Parent Loop BB0_3 Depth=1
                                        ; =>  This Inner Loop Header: Depth=2
	v_add_u32_e32 v15, s7, v3
	v_add_u32_e32 v10, 3, v15
	v_sub_u32_e32 v11, -3, v15
	v_max_i32_e32 v10, v10, v11
	s_add_i32 s0, s9, 1
	v_mov_b32_e32 v11, s0
	v_cmp_gt_i32_e32 vcc, s13, v10
	v_cndmask_b32_e32 v16, v11, v10, vcc
	v_mad_u64_u32 v[10:11], s[0:1], v16, s12, v[6:7]
	v_ashrrev_i32_e32 v11, 31, v10
	v_lshlrev_b64 v[10:11], 2, v[10:11]
	v_add_co_u32_e32 v10, vcc, s8, v10
	v_addc_co_u32_e32 v11, vcc, v7, v11, vcc
	global_load_dword v17, v[10:11], off
	v_sub_u32_e32 v10, v16, v3
	s_waitcnt vmcnt(1)
	v_mad_u64_u32 v[10:11], s[0:1], v10, v10, v[8:9]
	v_sub_u32_e32 v10, 0, v10
	v_cvt_f32_i32_e32 v10, v10
	s_cmp_eq_u32 s7, 0
	v_div_scale_f32 v11, s[0:1], v4, v4, v10
	v_rcp_f32_e32 v16, v11
	v_div_scale_f32 v18, s[0:1], v10, v4, v10
	v_fma_f32 v19, -v11, v16, 1.0
	v_fmac_f32_e32 v16, v19, v16
	v_mul_f32_e32 v19, v18, v16
	v_fma_f32 v20, -v11, v19, v18
	v_fmac_f32_e32 v19, v20, v16
	v_fma_f32 v11, -v11, v19, v18
	s_waitcnt vmcnt(0)
	v_sub_f32_e32 v20, v9, v17
	v_mul_f32_e32 v20, v20, v20
	v_div_scale_f32 v21, s[16:17], v5, v5, v20
	v_rcp_f32_e32 v22, v21
	v_div_scale_f32 v18, vcc, v20, v5, v20
	v_fma_f32 v23, -v21, v22, 1.0
	v_fmac_f32_e32 v22, v23, v22
	v_mul_f32_e32 v23, v18, v22
	v_fma_f32 v24, -v21, v23, v18
	v_fmac_f32_e32 v23, v24, v22
	v_fma_f32 v18, -v21, v23, v18
	v_div_fmas_f32 v18, v18, v22, v23
	s_mov_b64 vcc, s[0:1]
	v_div_fmas_f32 v11, v11, v16, v19
	v_div_fixup_f32 v18, v18, v5, v20
	v_div_fixup_f32 v10, v11, v4, v10
	v_sub_f32_e32 v10, v10, v18
	v_mul_f32_e32 v11, 0x3fb8aa3b, v10
	v_fma_f32 v16, v10, s4, -v11
	v_rndne_f32_e32 v18, v11
	v_fmac_f32_e32 v16, 0x32a5705f, v10
	v_sub_f32_e32 v11, v11, v18
	v_add_f32_e32 v11, v11, v16
	v_cvt_i32_f32_e32 v18, v18
	v_exp_f32_e32 v11, v11
	v_cmp_ngt_f32_e32 vcc, s5, v10
	v_ldexp_f32 v11, v11, v18
	v_cndmask_b32_e32 v11, 0, v11, vcc
	v_cmp_nlt_f32_e32 vcc, s6, v10
	v_cndmask_b32_e32 v10, v14, v11, vcc
	v_mul_f32_e32 v11, s14, v10
	v_mul_f32_e32 v10, v17, v11
	v_pk_add_f32 v[10:11], v[12:13], v[10:11]
	s_cbranch_scc1 .LBB0_4
; %bb.6:                                ;   in Loop: Header=BB0_5 Depth=2
	v_add_u32_e32 v12, 4, v15
	v_sub_u32_e32 v13, -4, v15
	v_max_i32_e32 v12, v12, v13
	v_mov_b32_e32 v13, s9
	v_cmp_gt_i32_e32 vcc, s13, v12
	v_cndmask_b32_e32 v15, v13, v12, vcc
	v_mad_u64_u32 v[12:13], s[0:1], v15, s12, v[6:7]
	v_ashrrev_i32_e32 v13, 31, v12
	v_lshlrev_b64 v[12:13], 2, v[12:13]
	v_add_co_u32_e32 v12, vcc, s8, v12
	v_addc_co_u32_e32 v13, vcc, v7, v13, vcc
	global_load_dword v16, v[12:13], off
	v_sub_u32_e32 v12, v15, v3
	v_mad_u64_u32 v[12:13], s[0:1], v12, v12, v[8:9]
	v_sub_u32_e32 v12, 0, v12
	v_cvt_f32_i32_e32 v12, v12
	s_add_i32 s9, s9, -2
	s_add_i32 s7, s7, 2
	v_div_scale_f32 v13, s[0:1], v4, v4, v12
	v_rcp_f32_e32 v15, v13
	v_div_scale_f32 v17, s[0:1], v12, v4, v12
	v_fma_f32 v18, -v13, v15, 1.0
	v_fmac_f32_e32 v15, v18, v15
	v_mul_f32_e32 v18, v17, v15
	v_fma_f32 v19, -v13, v18, v17
	v_fmac_f32_e32 v18, v19, v15
	v_fma_f32 v13, -v13, v18, v17
	s_waitcnt vmcnt(0)
	v_sub_f32_e32 v19, v9, v16
	v_mul_f32_e32 v19, v19, v19
	v_div_scale_f32 v20, s[16:17], v5, v5, v19
	v_rcp_f32_e32 v21, v20
	v_div_scale_f32 v17, vcc, v19, v5, v19
	v_fma_f32 v22, -v20, v21, 1.0
	v_fmac_f32_e32 v21, v22, v21
	v_mul_f32_e32 v22, v17, v21
	v_fma_f32 v23, -v20, v22, v17
	v_fmac_f32_e32 v22, v23, v21
	v_fma_f32 v17, -v20, v22, v17
	v_div_fmas_f32 v17, v17, v21, v22
	s_mov_b64 vcc, s[0:1]
	v_div_fmas_f32 v13, v13, v15, v18
	v_div_fixup_f32 v17, v17, v5, v19
	v_div_fixup_f32 v12, v13, v4, v12
	v_sub_f32_e32 v12, v12, v17
	v_mul_f32_e32 v13, 0x3fb8aa3b, v12
	v_fma_f32 v15, v12, s4, -v13
	v_rndne_f32_e32 v17, v13
	v_fmac_f32_e32 v15, 0x32a5705f, v12
	v_sub_f32_e32 v13, v13, v17
	v_add_f32_e32 v13, v13, v15
	v_cvt_i32_f32_e32 v17, v17
	v_exp_f32_e32 v13, v13
	v_cmp_ngt_f32_e32 vcc, s5, v12
	v_ldexp_f32 v13, v13, v17
	v_cndmask_b32_e32 v13, 0, v13, vcc
	v_cmp_nlt_f32_e32 vcc, s6, v12
	v_cndmask_b32_e32 v12, v14, v13, vcc
	v_mul_f32_e32 v13, s14, v12
	v_mul_f32_e32 v12, v16, v13
	v_pk_add_f32 v[12:13], v[10:11], v[12:13]
	s_cbranch_execnz .LBB0_5
	s_branch .LBB0_2
.LBB0_7:
	v_div_scale_f32 v2, s[0:1], v11, v11, v10
	v_rcp_f32_e32 v3, v2
	v_div_scale_f32 v4, vcc, v10, v11, v10
	v_fma_f32 v5, -v2, v3, 1.0
	v_fmac_f32_e32 v3, v5, v3
	v_mul_f32_e32 v5, v4, v3
	v_fma_f32 v6, -v2, v5, v4
	v_fmac_f32_e32 v5, v6, v3
	v_fma_f32 v2, -v2, v5, v4
	v_div_fmas_f32 v2, v2, v3, v5
	v_mov_b32_e32 v3, s11
	v_add_co_u32_e32 v0, vcc, s10, v0
	v_div_fixup_f32 v2, v2, v11, v10
	v_addc_co_u32_e32 v1, vcc, v3, v1, vcc
	global_store_dword v[0:1], v2, off
.LBB0_8:
	s_endpgm
	.section	.rodata,"a",@progbits
	.p2align	6, 0x0
	.amdhsa_kernel _Z15bilateralFilterILi3EEvPKfPfiifff
		.amdhsa_group_segment_fixed_size 0
		.amdhsa_private_segment_fixed_size 0
		.amdhsa_kernarg_size 296
		.amdhsa_user_sgpr_count 6
		.amdhsa_user_sgpr_private_segment_buffer 1
		.amdhsa_user_sgpr_dispatch_ptr 0
		.amdhsa_user_sgpr_queue_ptr 0
		.amdhsa_user_sgpr_kernarg_segment_ptr 1
		.amdhsa_user_sgpr_dispatch_id 0
		.amdhsa_user_sgpr_flat_scratch_init 0
		.amdhsa_user_sgpr_kernarg_preload_length 0
		.amdhsa_user_sgpr_kernarg_preload_offset 0
		.amdhsa_user_sgpr_private_segment_size 0
		.amdhsa_uses_dynamic_stack 0
		.amdhsa_system_sgpr_private_segment_wavefront_offset 0
		.amdhsa_system_sgpr_workgroup_id_x 1
		.amdhsa_system_sgpr_workgroup_id_y 1
		.amdhsa_system_sgpr_workgroup_id_z 0
		.amdhsa_system_sgpr_workgroup_info 0
		.amdhsa_system_vgpr_workitem_id 1
		.amdhsa_next_free_vgpr 25
		.amdhsa_next_free_sgpr 18
		.amdhsa_accum_offset 28
		.amdhsa_reserve_vcc 1
		.amdhsa_reserve_flat_scratch 0
		.amdhsa_float_round_mode_32 0
		.amdhsa_float_round_mode_16_64 0
		.amdhsa_float_denorm_mode_32 3
		.amdhsa_float_denorm_mode_16_64 3
		.amdhsa_dx10_clamp 1
		.amdhsa_ieee_mode 1
		.amdhsa_fp16_overflow 0
		.amdhsa_tg_split 0
		.amdhsa_exception_fp_ieee_invalid_op 0
		.amdhsa_exception_fp_denorm_src 0
		.amdhsa_exception_fp_ieee_div_zero 0
		.amdhsa_exception_fp_ieee_overflow 0
		.amdhsa_exception_fp_ieee_underflow 0
		.amdhsa_exception_fp_ieee_inexact 0
		.amdhsa_exception_int_div_zero 0
	.end_amdhsa_kernel
	.section	.text._Z15bilateralFilterILi3EEvPKfPfiifff,"axG",@progbits,_Z15bilateralFilterILi3EEvPKfPfiifff,comdat
.Lfunc_end0:
	.size	_Z15bilateralFilterILi3EEvPKfPfiifff, .Lfunc_end0-_Z15bilateralFilterILi3EEvPKfPfiifff
                                        ; -- End function
	.section	.AMDGPU.csdata,"",@progbits
; Kernel info:
; codeLenInByte = 1088
; NumSgprs: 22
; NumVgprs: 25
; NumAgprs: 0
; TotalNumVgprs: 25
; ScratchSize: 0
; MemoryBound: 0
; FloatMode: 240
; IeeeMode: 1
; LDSByteSize: 0 bytes/workgroup (compile time only)
; SGPRBlocks: 2
; VGPRBlocks: 3
; NumSGPRsForWavesPerEU: 22
; NumVGPRsForWavesPerEU: 25
; AccumOffset: 28
; Occupancy: 8
; WaveLimiterHint : 0
; COMPUTE_PGM_RSRC2:SCRATCH_EN: 0
; COMPUTE_PGM_RSRC2:USER_SGPR: 6
; COMPUTE_PGM_RSRC2:TRAP_HANDLER: 0
; COMPUTE_PGM_RSRC2:TGID_X_EN: 1
; COMPUTE_PGM_RSRC2:TGID_Y_EN: 1
; COMPUTE_PGM_RSRC2:TGID_Z_EN: 0
; COMPUTE_PGM_RSRC2:TIDIG_COMP_CNT: 1
; COMPUTE_PGM_RSRC3_GFX90A:ACCUM_OFFSET: 6
; COMPUTE_PGM_RSRC3_GFX90A:TG_SPLIT: 0
	.section	.text._Z15bilateralFilterILi6EEvPKfPfiifff,"axG",@progbits,_Z15bilateralFilterILi6EEvPKfPfiifff,comdat
	.protected	_Z15bilateralFilterILi6EEvPKfPfiifff ; -- Begin function _Z15bilateralFilterILi6EEvPKfPfiifff
	.globl	_Z15bilateralFilterILi6EEvPKfPfiifff
	.p2align	8
	.type	_Z15bilateralFilterILi6EEvPKfPfiifff,@function
_Z15bilateralFilterILi6EEvPKfPfiifff:   ; @_Z15bilateralFilterILi6EEvPKfPfiifff
; %bb.0:
	s_load_dword s0, s[4:5], 0x34
	s_load_dwordx4 s[12:15], s[4:5], 0x10
	v_and_b32_e32 v1, 0x3ff, v0
	v_bfe_u32 v0, v0, 10, 10
	s_waitcnt lgkmcnt(0)
	s_lshr_b32 s1, s0, 16
	s_and_b32 s0, s0, 0xffff
	s_mul_i32 s6, s6, s0
	s_mul_i32 s7, s7, s1
	v_add_u32_e32 v2, s6, v1
	v_add_u32_e32 v3, s7, v0
	v_cmp_gt_i32_e32 vcc, s12, v2
	v_cmp_gt_i32_e64 s[0:1], s13, v3
	s_and_b64 s[0:1], vcc, s[0:1]
	s_and_saveexec_b64 s[2:3], s[0:1]
	s_cbranch_execz .LBB1_8
; %bb.1:
	s_load_dwordx4 s[8:11], s[4:5], 0x0
	s_load_dword s0, s[4:5], 0x20
	v_mad_u64_u32 v[0:1], s[2:3], v3, s12, v[2:3]
	v_ashrrev_i32_e32 v1, 31, v0
	v_lshlrev_b64 v[0:1], 2, v[0:1]
	s_waitcnt lgkmcnt(0)
	v_mov_b32_e32 v7, s9
	v_add_co_u32_e32 v4, vcc, s8, v0
	v_addc_co_u32_e32 v5, vcc, v7, v1, vcc
	global_load_dword v9, v[4:5], off
	s_mov_b32 s1, s15
	v_pk_add_f32 v[4:5], s[0:1], s[0:1]
	s_mov_b32 s0, 0
	s_mov_b32 s1, s0
	s_add_i32 s2, s13, 5
	s_mov_b32 s3, -6
	v_pk_mov_b32 v[10:11], s[0:1], s[0:1] op_sel:[0,1]
	s_mov_b32 s4, 0x3fb8aa3b
	s_mov_b32 s5, 0xc2ce8ed0
	;; [unrolled: 1-line block ×3, first 2 shown]
	v_mov_b32_e32 v14, 0x7f800000
	s_branch .LBB1_3
.LBB1_2:                                ;   in Loop: Header=BB1_3 Depth=1
	s_add_i32 s3, s3, 1
	s_cmp_eq_u32 s3, 7
	s_cbranch_scc1 .LBB1_7
.LBB1_3:                                ; =>This Loop Header: Depth=1
                                        ;     Child Loop BB1_5 Depth 2
	v_add_u32_e32 v6, s3, v2
	v_sub_u32_e32 v8, 0, v6
	s_not_b32 s0, s3
	v_max_i32_e32 v6, v6, v8
	s_add_i32 s0, s0, s12
	v_mov_b32_e32 v8, s0
	v_cmp_gt_i32_e32 vcc, s12, v6
	v_cndmask_b32_e32 v6, v8, v6, vcc
	v_sub_u32_e32 v8, v6, v2
	v_mul_lo_u32 v8, v8, v8
	s_mov_b32 s7, s2
	s_mov_b32 s9, -6
	v_pk_mov_b32 v[12:13], v[10:11], v[10:11] op_sel:[0,1]
	s_branch .LBB1_5
.LBB1_4:                                ;   in Loop: Header=BB1_3 Depth=1
                                        ; implicit-def: $vgpr12_vgpr13
                                        ; implicit-def: $sgpr9
                                        ; implicit-def: $sgpr7
	s_branch .LBB1_2
.LBB1_5:                                ;   Parent Loop BB1_3 Depth=1
                                        ; =>  This Inner Loop Header: Depth=2
	v_add_u32_e32 v15, s9, v3
	v_sub_u32_e32 v10, 0, v15
	v_max_i32_e32 v10, v15, v10
	v_mov_b32_e32 v11, s7
	v_cmp_gt_i32_e32 vcc, s13, v10
	v_cndmask_b32_e32 v16, v11, v10, vcc
	v_mad_u64_u32 v[10:11], s[0:1], v16, s12, v[6:7]
	v_ashrrev_i32_e32 v11, 31, v10
	v_lshlrev_b64 v[10:11], 2, v[10:11]
	v_add_co_u32_e32 v10, vcc, s8, v10
	v_addc_co_u32_e32 v11, vcc, v7, v11, vcc
	global_load_dword v17, v[10:11], off
	v_sub_u32_e32 v10, v16, v3
	s_waitcnt vmcnt(1)
	v_mad_u64_u32 v[10:11], s[0:1], v10, v10, v[8:9]
	v_sub_u32_e32 v10, 0, v10
	v_cvt_f32_i32_e32 v10, v10
	s_cmp_eq_u32 s9, 6
	v_div_scale_f32 v11, s[0:1], v4, v4, v10
	v_rcp_f32_e32 v16, v11
	v_div_scale_f32 v18, s[0:1], v10, v4, v10
	v_fma_f32 v19, -v11, v16, 1.0
	v_fmac_f32_e32 v16, v19, v16
	v_mul_f32_e32 v19, v18, v16
	v_fma_f32 v20, -v11, v19, v18
	v_fmac_f32_e32 v19, v20, v16
	v_fma_f32 v11, -v11, v19, v18
	s_waitcnt vmcnt(0)
	v_sub_f32_e32 v20, v9, v17
	v_mul_f32_e32 v20, v20, v20
	v_div_scale_f32 v21, s[16:17], v5, v5, v20
	v_rcp_f32_e32 v22, v21
	v_div_scale_f32 v18, vcc, v20, v5, v20
	v_fma_f32 v23, -v21, v22, 1.0
	v_fmac_f32_e32 v22, v23, v22
	v_mul_f32_e32 v23, v18, v22
	v_fma_f32 v24, -v21, v23, v18
	v_fmac_f32_e32 v23, v24, v22
	v_fma_f32 v18, -v21, v23, v18
	v_div_fmas_f32 v18, v18, v22, v23
	s_mov_b64 vcc, s[0:1]
	v_div_fmas_f32 v11, v11, v16, v19
	v_div_fixup_f32 v18, v18, v5, v20
	v_div_fixup_f32 v10, v11, v4, v10
	v_sub_f32_e32 v10, v10, v18
	v_mul_f32_e32 v11, 0x3fb8aa3b, v10
	v_fma_f32 v16, v10, s4, -v11
	v_rndne_f32_e32 v18, v11
	v_fmac_f32_e32 v16, 0x32a5705f, v10
	v_sub_f32_e32 v11, v11, v18
	v_add_f32_e32 v11, v11, v16
	v_cvt_i32_f32_e32 v18, v18
	v_exp_f32_e32 v11, v11
	v_cmp_ngt_f32_e32 vcc, s5, v10
	v_ldexp_f32 v11, v11, v18
	v_cndmask_b32_e32 v11, 0, v11, vcc
	v_cmp_nlt_f32_e32 vcc, s6, v10
	v_cndmask_b32_e32 v10, v14, v11, vcc
	v_mul_f32_e32 v11, s14, v10
	v_mul_f32_e32 v10, v17, v11
	v_pk_add_f32 v[10:11], v[12:13], v[10:11]
	s_cbranch_scc1 .LBB1_4
; %bb.6:                                ;   in Loop: Header=BB1_5 Depth=2
	v_add_u32_e32 v12, 1, v15
	v_not_b32_e32 v13, v15
	s_xor_b32 s0, s9, -2
	v_max_i32_e32 v12, v12, v13
	s_add_i32 s0, s0, s13
	v_mov_b32_e32 v13, s0
	v_cmp_gt_i32_e32 vcc, s13, v12
	v_cndmask_b32_e32 v15, v13, v12, vcc
	v_mad_u64_u32 v[12:13], s[0:1], v15, s12, v[6:7]
	v_ashrrev_i32_e32 v13, 31, v12
	v_lshlrev_b64 v[12:13], 2, v[12:13]
	v_add_co_u32_e32 v12, vcc, s8, v12
	v_addc_co_u32_e32 v13, vcc, v7, v13, vcc
	global_load_dword v16, v[12:13], off
	v_sub_u32_e32 v12, v15, v3
	v_mad_u64_u32 v[12:13], s[0:1], v12, v12, v[8:9]
	v_sub_u32_e32 v12, 0, v12
	v_cvt_f32_i32_e32 v12, v12
	s_add_i32 s9, s9, 2
	s_add_i32 s7, s7, -2
	v_div_scale_f32 v13, s[0:1], v4, v4, v12
	v_rcp_f32_e32 v15, v13
	v_div_scale_f32 v17, s[0:1], v12, v4, v12
	v_fma_f32 v18, -v13, v15, 1.0
	v_fmac_f32_e32 v15, v18, v15
	v_mul_f32_e32 v18, v17, v15
	v_fma_f32 v19, -v13, v18, v17
	v_fmac_f32_e32 v18, v19, v15
	v_fma_f32 v13, -v13, v18, v17
	s_waitcnt vmcnt(0)
	v_sub_f32_e32 v19, v9, v16
	v_mul_f32_e32 v19, v19, v19
	v_div_scale_f32 v20, s[16:17], v5, v5, v19
	v_rcp_f32_e32 v21, v20
	v_div_scale_f32 v17, vcc, v19, v5, v19
	v_fma_f32 v22, -v20, v21, 1.0
	v_fmac_f32_e32 v21, v22, v21
	v_mul_f32_e32 v22, v17, v21
	v_fma_f32 v23, -v20, v22, v17
	v_fmac_f32_e32 v22, v23, v21
	v_fma_f32 v17, -v20, v22, v17
	v_div_fmas_f32 v17, v17, v21, v22
	s_mov_b64 vcc, s[0:1]
	v_div_fmas_f32 v13, v13, v15, v18
	v_div_fixup_f32 v17, v17, v5, v19
	v_div_fixup_f32 v12, v13, v4, v12
	v_sub_f32_e32 v12, v12, v17
	v_mul_f32_e32 v13, 0x3fb8aa3b, v12
	v_fma_f32 v15, v12, s4, -v13
	v_rndne_f32_e32 v17, v13
	v_fmac_f32_e32 v15, 0x32a5705f, v12
	v_sub_f32_e32 v13, v13, v17
	v_add_f32_e32 v13, v13, v15
	v_cvt_i32_f32_e32 v17, v17
	v_exp_f32_e32 v13, v13
	v_cmp_ngt_f32_e32 vcc, s5, v12
	v_ldexp_f32 v13, v13, v17
	v_cndmask_b32_e32 v13, 0, v13, vcc
	v_cmp_nlt_f32_e32 vcc, s6, v12
	v_cndmask_b32_e32 v12, v14, v13, vcc
	v_mul_f32_e32 v13, s14, v12
	v_mul_f32_e32 v12, v16, v13
	v_pk_add_f32 v[12:13], v[10:11], v[12:13]
	s_cbranch_execnz .LBB1_5
	s_branch .LBB1_2
.LBB1_7:
	v_div_scale_f32 v2, s[0:1], v11, v11, v10
	v_rcp_f32_e32 v3, v2
	v_div_scale_f32 v4, vcc, v10, v11, v10
	v_fma_f32 v5, -v2, v3, 1.0
	v_fmac_f32_e32 v3, v5, v3
	v_mul_f32_e32 v5, v4, v3
	v_fma_f32 v6, -v2, v5, v4
	v_fmac_f32_e32 v5, v6, v3
	v_fma_f32 v2, -v2, v5, v4
	v_div_fmas_f32 v2, v2, v3, v5
	v_mov_b32_e32 v3, s11
	v_add_co_u32_e32 v0, vcc, s10, v0
	v_div_fixup_f32 v2, v2, v11, v10
	v_addc_co_u32_e32 v1, vcc, v3, v1, vcc
	global_store_dword v[0:1], v2, off
.LBB1_8:
	s_endpgm
	.section	.rodata,"a",@progbits
	.p2align	6, 0x0
	.amdhsa_kernel _Z15bilateralFilterILi6EEvPKfPfiifff
		.amdhsa_group_segment_fixed_size 0
		.amdhsa_private_segment_fixed_size 0
		.amdhsa_kernarg_size 296
		.amdhsa_user_sgpr_count 6
		.amdhsa_user_sgpr_private_segment_buffer 1
		.amdhsa_user_sgpr_dispatch_ptr 0
		.amdhsa_user_sgpr_queue_ptr 0
		.amdhsa_user_sgpr_kernarg_segment_ptr 1
		.amdhsa_user_sgpr_dispatch_id 0
		.amdhsa_user_sgpr_flat_scratch_init 0
		.amdhsa_user_sgpr_kernarg_preload_length 0
		.amdhsa_user_sgpr_kernarg_preload_offset 0
		.amdhsa_user_sgpr_private_segment_size 0
		.amdhsa_uses_dynamic_stack 0
		.amdhsa_system_sgpr_private_segment_wavefront_offset 0
		.amdhsa_system_sgpr_workgroup_id_x 1
		.amdhsa_system_sgpr_workgroup_id_y 1
		.amdhsa_system_sgpr_workgroup_id_z 0
		.amdhsa_system_sgpr_workgroup_info 0
		.amdhsa_system_vgpr_workitem_id 1
		.amdhsa_next_free_vgpr 25
		.amdhsa_next_free_sgpr 18
		.amdhsa_accum_offset 28
		.amdhsa_reserve_vcc 1
		.amdhsa_reserve_flat_scratch 0
		.amdhsa_float_round_mode_32 0
		.amdhsa_float_round_mode_16_64 0
		.amdhsa_float_denorm_mode_32 3
		.amdhsa_float_denorm_mode_16_64 3
		.amdhsa_dx10_clamp 1
		.amdhsa_ieee_mode 1
		.amdhsa_fp16_overflow 0
		.amdhsa_tg_split 0
		.amdhsa_exception_fp_ieee_invalid_op 0
		.amdhsa_exception_fp_denorm_src 0
		.amdhsa_exception_fp_ieee_div_zero 0
		.amdhsa_exception_fp_ieee_overflow 0
		.amdhsa_exception_fp_ieee_underflow 0
		.amdhsa_exception_fp_ieee_inexact 0
		.amdhsa_exception_int_div_zero 0
	.end_amdhsa_kernel
	.section	.text._Z15bilateralFilterILi6EEvPKfPfiifff,"axG",@progbits,_Z15bilateralFilterILi6EEvPKfPfiifff,comdat
.Lfunc_end1:
	.size	_Z15bilateralFilterILi6EEvPKfPfiifff, .Lfunc_end1-_Z15bilateralFilterILi6EEvPKfPfiifff
                                        ; -- End function
	.section	.AMDGPU.csdata,"",@progbits
; Kernel info:
; codeLenInByte = 1088
; NumSgprs: 22
; NumVgprs: 25
; NumAgprs: 0
; TotalNumVgprs: 25
; ScratchSize: 0
; MemoryBound: 0
; FloatMode: 240
; IeeeMode: 1
; LDSByteSize: 0 bytes/workgroup (compile time only)
; SGPRBlocks: 2
; VGPRBlocks: 3
; NumSGPRsForWavesPerEU: 22
; NumVGPRsForWavesPerEU: 25
; AccumOffset: 28
; Occupancy: 8
; WaveLimiterHint : 0
; COMPUTE_PGM_RSRC2:SCRATCH_EN: 0
; COMPUTE_PGM_RSRC2:USER_SGPR: 6
; COMPUTE_PGM_RSRC2:TRAP_HANDLER: 0
; COMPUTE_PGM_RSRC2:TGID_X_EN: 1
; COMPUTE_PGM_RSRC2:TGID_Y_EN: 1
; COMPUTE_PGM_RSRC2:TGID_Z_EN: 0
; COMPUTE_PGM_RSRC2:TIDIG_COMP_CNT: 1
; COMPUTE_PGM_RSRC3_GFX90A:ACCUM_OFFSET: 6
; COMPUTE_PGM_RSRC3_GFX90A:TG_SPLIT: 0
	.section	.text._Z15bilateralFilterILi9EEvPKfPfiifff,"axG",@progbits,_Z15bilateralFilterILi9EEvPKfPfiifff,comdat
	.protected	_Z15bilateralFilterILi9EEvPKfPfiifff ; -- Begin function _Z15bilateralFilterILi9EEvPKfPfiifff
	.globl	_Z15bilateralFilterILi9EEvPKfPfiifff
	.p2align	8
	.type	_Z15bilateralFilterILi9EEvPKfPfiifff,@function
_Z15bilateralFilterILi9EEvPKfPfiifff:   ; @_Z15bilateralFilterILi9EEvPKfPfiifff
; %bb.0:
	s_load_dword s0, s[4:5], 0x34
	s_load_dwordx4 s[12:15], s[4:5], 0x10
	v_and_b32_e32 v1, 0x3ff, v0
	v_bfe_u32 v0, v0, 10, 10
	s_waitcnt lgkmcnt(0)
	s_lshr_b32 s1, s0, 16
	s_and_b32 s0, s0, 0xffff
	s_mul_i32 s6, s6, s0
	s_mul_i32 s7, s7, s1
	v_add_u32_e32 v2, s6, v1
	v_add_u32_e32 v3, s7, v0
	v_cmp_gt_i32_e32 vcc, s12, v2
	v_cmp_gt_i32_e64 s[0:1], s13, v3
	s_and_b64 s[0:1], vcc, s[0:1]
	s_and_saveexec_b64 s[2:3], s[0:1]
	s_cbranch_execz .LBB2_8
; %bb.1:
	s_load_dwordx4 s[8:11], s[4:5], 0x0
	s_load_dword s0, s[4:5], 0x20
	v_mad_u64_u32 v[0:1], s[2:3], v3, s12, v[2:3]
	v_ashrrev_i32_e32 v1, 31, v0
	v_lshlrev_b64 v[0:1], 2, v[0:1]
	s_waitcnt lgkmcnt(0)
	v_mov_b32_e32 v7, s9
	v_add_co_u32_e32 v4, vcc, s8, v0
	v_addc_co_u32_e32 v5, vcc, v7, v1, vcc
	global_load_dword v9, v[4:5], off
	s_mov_b32 s1, s15
	v_pk_add_f32 v[4:5], s[0:1], s[0:1]
	s_mov_b32 s0, 0
	s_mov_b32 s1, s0
	s_add_i32 s2, s13, 7
	s_mov_b32 s3, -9
	v_pk_mov_b32 v[10:11], s[0:1], s[0:1] op_sel:[0,1]
	s_mov_b32 s4, 0x3fb8aa3b
	s_mov_b32 s5, 0xc2ce8ed0
	;; [unrolled: 1-line block ×3, first 2 shown]
	v_mov_b32_e32 v14, 0x7f800000
	s_branch .LBB2_3
.LBB2_2:                                ;   in Loop: Header=BB2_3 Depth=1
	s_add_i32 s3, s3, 1
	s_cmp_eq_u32 s3, 10
	s_cbranch_scc1 .LBB2_7
.LBB2_3:                                ; =>This Loop Header: Depth=1
                                        ;     Child Loop BB2_5 Depth 2
	v_add_u32_e32 v6, s3, v2
	v_sub_u32_e32 v8, 0, v6
	s_not_b32 s0, s3
	v_max_i32_e32 v6, v6, v8
	s_add_i32 s0, s0, s12
	v_mov_b32_e32 v8, s0
	v_cmp_gt_i32_e32 vcc, s12, v6
	v_cndmask_b32_e32 v6, v8, v6, vcc
	v_sub_u32_e32 v8, v6, v2
	v_mul_lo_u32 v8, v8, v8
	s_movk_i32 s7, 0xffee
	s_mov_b32 s9, s2
	v_pk_mov_b32 v[12:13], v[10:11], v[10:11] op_sel:[0,1]
	s_branch .LBB2_5
.LBB2_4:                                ;   in Loop: Header=BB2_3 Depth=1
                                        ; implicit-def: $vgpr12_vgpr13
                                        ; implicit-def: $sgpr9
                                        ; implicit-def: $sgpr7
	s_branch .LBB2_2
.LBB2_5:                                ;   Parent Loop BB2_3 Depth=1
                                        ; =>  This Inner Loop Header: Depth=2
	v_add_u32_e32 v15, s7, v3
	v_add_u32_e32 v10, 9, v15
	v_sub_u32_e32 v11, -9, v15
	v_max_i32_e32 v10, v10, v11
	s_add_i32 s0, s9, 1
	v_mov_b32_e32 v11, s0
	v_cmp_gt_i32_e32 vcc, s13, v10
	v_cndmask_b32_e32 v16, v11, v10, vcc
	v_mad_u64_u32 v[10:11], s[0:1], v16, s12, v[6:7]
	v_ashrrev_i32_e32 v11, 31, v10
	v_lshlrev_b64 v[10:11], 2, v[10:11]
	v_add_co_u32_e32 v10, vcc, s8, v10
	v_addc_co_u32_e32 v11, vcc, v7, v11, vcc
	global_load_dword v17, v[10:11], off
	v_sub_u32_e32 v10, v16, v3
	s_waitcnt vmcnt(1)
	v_mad_u64_u32 v[10:11], s[0:1], v10, v10, v[8:9]
	v_sub_u32_e32 v10, 0, v10
	v_cvt_f32_i32_e32 v10, v10
	s_cmp_eq_u32 s7, 0
	v_div_scale_f32 v11, s[0:1], v4, v4, v10
	v_rcp_f32_e32 v16, v11
	v_div_scale_f32 v18, s[0:1], v10, v4, v10
	v_fma_f32 v19, -v11, v16, 1.0
	v_fmac_f32_e32 v16, v19, v16
	v_mul_f32_e32 v19, v18, v16
	v_fma_f32 v20, -v11, v19, v18
	v_fmac_f32_e32 v19, v20, v16
	v_fma_f32 v11, -v11, v19, v18
	s_waitcnt vmcnt(0)
	v_sub_f32_e32 v20, v9, v17
	v_mul_f32_e32 v20, v20, v20
	v_div_scale_f32 v21, s[16:17], v5, v5, v20
	v_rcp_f32_e32 v22, v21
	v_div_scale_f32 v18, vcc, v20, v5, v20
	v_fma_f32 v23, -v21, v22, 1.0
	v_fmac_f32_e32 v22, v23, v22
	v_mul_f32_e32 v23, v18, v22
	v_fma_f32 v24, -v21, v23, v18
	v_fmac_f32_e32 v23, v24, v22
	v_fma_f32 v18, -v21, v23, v18
	v_div_fmas_f32 v18, v18, v22, v23
	s_mov_b64 vcc, s[0:1]
	v_div_fmas_f32 v11, v11, v16, v19
	v_div_fixup_f32 v18, v18, v5, v20
	v_div_fixup_f32 v10, v11, v4, v10
	v_sub_f32_e32 v10, v10, v18
	v_mul_f32_e32 v11, 0x3fb8aa3b, v10
	v_fma_f32 v16, v10, s4, -v11
	v_rndne_f32_e32 v18, v11
	v_fmac_f32_e32 v16, 0x32a5705f, v10
	v_sub_f32_e32 v11, v11, v18
	v_add_f32_e32 v11, v11, v16
	v_cvt_i32_f32_e32 v18, v18
	v_exp_f32_e32 v11, v11
	v_cmp_ngt_f32_e32 vcc, s5, v10
	v_ldexp_f32 v11, v11, v18
	v_cndmask_b32_e32 v11, 0, v11, vcc
	v_cmp_nlt_f32_e32 vcc, s6, v10
	v_cndmask_b32_e32 v10, v14, v11, vcc
	v_mul_f32_e32 v11, s14, v10
	v_mul_f32_e32 v10, v17, v11
	v_pk_add_f32 v[10:11], v[12:13], v[10:11]
	s_cbranch_scc1 .LBB2_4
; %bb.6:                                ;   in Loop: Header=BB2_5 Depth=2
	v_add_u32_e32 v12, 10, v15
	v_sub_u32_e32 v13, -10, v15
	v_max_i32_e32 v12, v12, v13
	v_mov_b32_e32 v13, s9
	v_cmp_gt_i32_e32 vcc, s13, v12
	v_cndmask_b32_e32 v15, v13, v12, vcc
	v_mad_u64_u32 v[12:13], s[0:1], v15, s12, v[6:7]
	v_ashrrev_i32_e32 v13, 31, v12
	v_lshlrev_b64 v[12:13], 2, v[12:13]
	v_add_co_u32_e32 v12, vcc, s8, v12
	v_addc_co_u32_e32 v13, vcc, v7, v13, vcc
	global_load_dword v16, v[12:13], off
	v_sub_u32_e32 v12, v15, v3
	v_mad_u64_u32 v[12:13], s[0:1], v12, v12, v[8:9]
	v_sub_u32_e32 v12, 0, v12
	v_cvt_f32_i32_e32 v12, v12
	s_add_i32 s9, s9, -2
	s_add_i32 s7, s7, 2
	v_div_scale_f32 v13, s[0:1], v4, v4, v12
	v_rcp_f32_e32 v15, v13
	v_div_scale_f32 v17, s[0:1], v12, v4, v12
	v_fma_f32 v18, -v13, v15, 1.0
	v_fmac_f32_e32 v15, v18, v15
	v_mul_f32_e32 v18, v17, v15
	v_fma_f32 v19, -v13, v18, v17
	v_fmac_f32_e32 v18, v19, v15
	v_fma_f32 v13, -v13, v18, v17
	s_waitcnt vmcnt(0)
	v_sub_f32_e32 v19, v9, v16
	v_mul_f32_e32 v19, v19, v19
	v_div_scale_f32 v20, s[16:17], v5, v5, v19
	v_rcp_f32_e32 v21, v20
	v_div_scale_f32 v17, vcc, v19, v5, v19
	v_fma_f32 v22, -v20, v21, 1.0
	v_fmac_f32_e32 v21, v22, v21
	v_mul_f32_e32 v22, v17, v21
	v_fma_f32 v23, -v20, v22, v17
	v_fmac_f32_e32 v22, v23, v21
	v_fma_f32 v17, -v20, v22, v17
	v_div_fmas_f32 v17, v17, v21, v22
	s_mov_b64 vcc, s[0:1]
	v_div_fmas_f32 v13, v13, v15, v18
	v_div_fixup_f32 v17, v17, v5, v19
	v_div_fixup_f32 v12, v13, v4, v12
	v_sub_f32_e32 v12, v12, v17
	v_mul_f32_e32 v13, 0x3fb8aa3b, v12
	v_fma_f32 v15, v12, s4, -v13
	v_rndne_f32_e32 v17, v13
	v_fmac_f32_e32 v15, 0x32a5705f, v12
	v_sub_f32_e32 v13, v13, v17
	v_add_f32_e32 v13, v13, v15
	v_cvt_i32_f32_e32 v17, v17
	v_exp_f32_e32 v13, v13
	v_cmp_ngt_f32_e32 vcc, s5, v12
	v_ldexp_f32 v13, v13, v17
	v_cndmask_b32_e32 v13, 0, v13, vcc
	v_cmp_nlt_f32_e32 vcc, s6, v12
	v_cndmask_b32_e32 v12, v14, v13, vcc
	v_mul_f32_e32 v13, s14, v12
	v_mul_f32_e32 v12, v16, v13
	v_pk_add_f32 v[12:13], v[10:11], v[12:13]
	s_cbranch_execnz .LBB2_5
	s_branch .LBB2_2
.LBB2_7:
	v_div_scale_f32 v2, s[0:1], v11, v11, v10
	v_rcp_f32_e32 v3, v2
	v_div_scale_f32 v4, vcc, v10, v11, v10
	v_fma_f32 v5, -v2, v3, 1.0
	v_fmac_f32_e32 v3, v5, v3
	v_mul_f32_e32 v5, v4, v3
	v_fma_f32 v6, -v2, v5, v4
	v_fmac_f32_e32 v5, v6, v3
	v_fma_f32 v2, -v2, v5, v4
	v_div_fmas_f32 v2, v2, v3, v5
	v_mov_b32_e32 v3, s11
	v_add_co_u32_e32 v0, vcc, s10, v0
	v_div_fixup_f32 v2, v2, v11, v10
	v_addc_co_u32_e32 v1, vcc, v3, v1, vcc
	global_store_dword v[0:1], v2, off
.LBB2_8:
	s_endpgm
	.section	.rodata,"a",@progbits
	.p2align	6, 0x0
	.amdhsa_kernel _Z15bilateralFilterILi9EEvPKfPfiifff
		.amdhsa_group_segment_fixed_size 0
		.amdhsa_private_segment_fixed_size 0
		.amdhsa_kernarg_size 296
		.amdhsa_user_sgpr_count 6
		.amdhsa_user_sgpr_private_segment_buffer 1
		.amdhsa_user_sgpr_dispatch_ptr 0
		.amdhsa_user_sgpr_queue_ptr 0
		.amdhsa_user_sgpr_kernarg_segment_ptr 1
		.amdhsa_user_sgpr_dispatch_id 0
		.amdhsa_user_sgpr_flat_scratch_init 0
		.amdhsa_user_sgpr_kernarg_preload_length 0
		.amdhsa_user_sgpr_kernarg_preload_offset 0
		.amdhsa_user_sgpr_private_segment_size 0
		.amdhsa_uses_dynamic_stack 0
		.amdhsa_system_sgpr_private_segment_wavefront_offset 0
		.amdhsa_system_sgpr_workgroup_id_x 1
		.amdhsa_system_sgpr_workgroup_id_y 1
		.amdhsa_system_sgpr_workgroup_id_z 0
		.amdhsa_system_sgpr_workgroup_info 0
		.amdhsa_system_vgpr_workitem_id 1
		.amdhsa_next_free_vgpr 25
		.amdhsa_next_free_sgpr 18
		.amdhsa_accum_offset 28
		.amdhsa_reserve_vcc 1
		.amdhsa_reserve_flat_scratch 0
		.amdhsa_float_round_mode_32 0
		.amdhsa_float_round_mode_16_64 0
		.amdhsa_float_denorm_mode_32 3
		.amdhsa_float_denorm_mode_16_64 3
		.amdhsa_dx10_clamp 1
		.amdhsa_ieee_mode 1
		.amdhsa_fp16_overflow 0
		.amdhsa_tg_split 0
		.amdhsa_exception_fp_ieee_invalid_op 0
		.amdhsa_exception_fp_denorm_src 0
		.amdhsa_exception_fp_ieee_div_zero 0
		.amdhsa_exception_fp_ieee_overflow 0
		.amdhsa_exception_fp_ieee_underflow 0
		.amdhsa_exception_fp_ieee_inexact 0
		.amdhsa_exception_int_div_zero 0
	.end_amdhsa_kernel
	.section	.text._Z15bilateralFilterILi9EEvPKfPfiifff,"axG",@progbits,_Z15bilateralFilterILi9EEvPKfPfiifff,comdat
.Lfunc_end2:
	.size	_Z15bilateralFilterILi9EEvPKfPfiifff, .Lfunc_end2-_Z15bilateralFilterILi9EEvPKfPfiifff
                                        ; -- End function
	.section	.AMDGPU.csdata,"",@progbits
; Kernel info:
; codeLenInByte = 1088
; NumSgprs: 22
; NumVgprs: 25
; NumAgprs: 0
; TotalNumVgprs: 25
; ScratchSize: 0
; MemoryBound: 0
; FloatMode: 240
; IeeeMode: 1
; LDSByteSize: 0 bytes/workgroup (compile time only)
; SGPRBlocks: 2
; VGPRBlocks: 3
; NumSGPRsForWavesPerEU: 22
; NumVGPRsForWavesPerEU: 25
; AccumOffset: 28
; Occupancy: 8
; WaveLimiterHint : 0
; COMPUTE_PGM_RSRC2:SCRATCH_EN: 0
; COMPUTE_PGM_RSRC2:USER_SGPR: 6
; COMPUTE_PGM_RSRC2:TRAP_HANDLER: 0
; COMPUTE_PGM_RSRC2:TGID_X_EN: 1
; COMPUTE_PGM_RSRC2:TGID_Y_EN: 1
; COMPUTE_PGM_RSRC2:TGID_Z_EN: 0
; COMPUTE_PGM_RSRC2:TIDIG_COMP_CNT: 1
; COMPUTE_PGM_RSRC3_GFX90A:ACCUM_OFFSET: 6
; COMPUTE_PGM_RSRC3_GFX90A:TG_SPLIT: 0
	.text
	.p2alignl 6, 3212836864
	.fill 256, 4, 3212836864
	.type	__hip_cuid_2366973875136dc8,@object ; @__hip_cuid_2366973875136dc8
	.section	.bss,"aw",@nobits
	.globl	__hip_cuid_2366973875136dc8
__hip_cuid_2366973875136dc8:
	.byte	0                               ; 0x0
	.size	__hip_cuid_2366973875136dc8, 1

	.ident	"AMD clang version 19.0.0git (https://github.com/RadeonOpenCompute/llvm-project roc-6.4.0 25133 c7fe45cf4b819c5991fe208aaa96edf142730f1d)"
	.section	".note.GNU-stack","",@progbits
	.addrsig
	.addrsig_sym __hip_cuid_2366973875136dc8
	.amdgpu_metadata
---
amdhsa.kernels:
  - .agpr_count:     0
    .args:
      - .actual_access:  read_only
        .address_space:  global
        .offset:         0
        .size:           8
        .value_kind:     global_buffer
      - .actual_access:  write_only
        .address_space:  global
        .offset:         8
        .size:           8
        .value_kind:     global_buffer
      - .offset:         16
        .size:           4
        .value_kind:     by_value
      - .offset:         20
        .size:           4
        .value_kind:     by_value
      - .offset:         24
        .size:           4
        .value_kind:     by_value
      - .offset:         28
        .size:           4
        .value_kind:     by_value
      - .offset:         32
        .size:           4
        .value_kind:     by_value
      - .offset:         40
        .size:           4
        .value_kind:     hidden_block_count_x
      - .offset:         44
        .size:           4
        .value_kind:     hidden_block_count_y
      - .offset:         48
        .size:           4
        .value_kind:     hidden_block_count_z
      - .offset:         52
        .size:           2
        .value_kind:     hidden_group_size_x
      - .offset:         54
        .size:           2
        .value_kind:     hidden_group_size_y
      - .offset:         56
        .size:           2
        .value_kind:     hidden_group_size_z
      - .offset:         58
        .size:           2
        .value_kind:     hidden_remainder_x
      - .offset:         60
        .size:           2
        .value_kind:     hidden_remainder_y
      - .offset:         62
        .size:           2
        .value_kind:     hidden_remainder_z
      - .offset:         80
        .size:           8
        .value_kind:     hidden_global_offset_x
      - .offset:         88
        .size:           8
        .value_kind:     hidden_global_offset_y
      - .offset:         96
        .size:           8
        .value_kind:     hidden_global_offset_z
      - .offset:         104
        .size:           2
        .value_kind:     hidden_grid_dims
    .group_segment_fixed_size: 0
    .kernarg_segment_align: 8
    .kernarg_segment_size: 296
    .language:       OpenCL C
    .language_version:
      - 2
      - 0
    .max_flat_workgroup_size: 1024
    .name:           _Z15bilateralFilterILi3EEvPKfPfiifff
    .private_segment_fixed_size: 0
    .sgpr_count:     22
    .sgpr_spill_count: 0
    .symbol:         _Z15bilateralFilterILi3EEvPKfPfiifff.kd
    .uniform_work_group_size: 1
    .uses_dynamic_stack: false
    .vgpr_count:     25
    .vgpr_spill_count: 0
    .wavefront_size: 64
  - .agpr_count:     0
    .args:
      - .actual_access:  read_only
        .address_space:  global
        .offset:         0
        .size:           8
        .value_kind:     global_buffer
      - .actual_access:  write_only
        .address_space:  global
        .offset:         8
        .size:           8
        .value_kind:     global_buffer
      - .offset:         16
        .size:           4
        .value_kind:     by_value
      - .offset:         20
        .size:           4
        .value_kind:     by_value
      - .offset:         24
        .size:           4
        .value_kind:     by_value
      - .offset:         28
        .size:           4
        .value_kind:     by_value
      - .offset:         32
        .size:           4
        .value_kind:     by_value
      - .offset:         40
        .size:           4
        .value_kind:     hidden_block_count_x
      - .offset:         44
        .size:           4
        .value_kind:     hidden_block_count_y
      - .offset:         48
        .size:           4
        .value_kind:     hidden_block_count_z
      - .offset:         52
        .size:           2
        .value_kind:     hidden_group_size_x
      - .offset:         54
        .size:           2
        .value_kind:     hidden_group_size_y
      - .offset:         56
        .size:           2
        .value_kind:     hidden_group_size_z
      - .offset:         58
        .size:           2
        .value_kind:     hidden_remainder_x
      - .offset:         60
        .size:           2
        .value_kind:     hidden_remainder_y
      - .offset:         62
        .size:           2
        .value_kind:     hidden_remainder_z
      - .offset:         80
        .size:           8
        .value_kind:     hidden_global_offset_x
      - .offset:         88
        .size:           8
        .value_kind:     hidden_global_offset_y
      - .offset:         96
        .size:           8
        .value_kind:     hidden_global_offset_z
      - .offset:         104
        .size:           2
        .value_kind:     hidden_grid_dims
    .group_segment_fixed_size: 0
    .kernarg_segment_align: 8
    .kernarg_segment_size: 296
    .language:       OpenCL C
    .language_version:
      - 2
      - 0
    .max_flat_workgroup_size: 1024
    .name:           _Z15bilateralFilterILi6EEvPKfPfiifff
    .private_segment_fixed_size: 0
    .sgpr_count:     22
    .sgpr_spill_count: 0
    .symbol:         _Z15bilateralFilterILi6EEvPKfPfiifff.kd
    .uniform_work_group_size: 1
    .uses_dynamic_stack: false
    .vgpr_count:     25
    .vgpr_spill_count: 0
    .wavefront_size: 64
  - .agpr_count:     0
    .args:
      - .actual_access:  read_only
        .address_space:  global
        .offset:         0
        .size:           8
        .value_kind:     global_buffer
      - .actual_access:  write_only
        .address_space:  global
        .offset:         8
        .size:           8
        .value_kind:     global_buffer
      - .offset:         16
        .size:           4
        .value_kind:     by_value
      - .offset:         20
        .size:           4
        .value_kind:     by_value
      - .offset:         24
        .size:           4
        .value_kind:     by_value
      - .offset:         28
        .size:           4
        .value_kind:     by_value
      - .offset:         32
        .size:           4
        .value_kind:     by_value
      - .offset:         40
        .size:           4
        .value_kind:     hidden_block_count_x
      - .offset:         44
        .size:           4
        .value_kind:     hidden_block_count_y
      - .offset:         48
        .size:           4
        .value_kind:     hidden_block_count_z
      - .offset:         52
        .size:           2
        .value_kind:     hidden_group_size_x
      - .offset:         54
        .size:           2
        .value_kind:     hidden_group_size_y
      - .offset:         56
        .size:           2
        .value_kind:     hidden_group_size_z
      - .offset:         58
        .size:           2
        .value_kind:     hidden_remainder_x
      - .offset:         60
        .size:           2
        .value_kind:     hidden_remainder_y
      - .offset:         62
        .size:           2
        .value_kind:     hidden_remainder_z
      - .offset:         80
        .size:           8
        .value_kind:     hidden_global_offset_x
      - .offset:         88
        .size:           8
        .value_kind:     hidden_global_offset_y
      - .offset:         96
        .size:           8
        .value_kind:     hidden_global_offset_z
      - .offset:         104
        .size:           2
        .value_kind:     hidden_grid_dims
    .group_segment_fixed_size: 0
    .kernarg_segment_align: 8
    .kernarg_segment_size: 296
    .language:       OpenCL C
    .language_version:
      - 2
      - 0
    .max_flat_workgroup_size: 1024
    .name:           _Z15bilateralFilterILi9EEvPKfPfiifff
    .private_segment_fixed_size: 0
    .sgpr_count:     22
    .sgpr_spill_count: 0
    .symbol:         _Z15bilateralFilterILi9EEvPKfPfiifff.kd
    .uniform_work_group_size: 1
    .uses_dynamic_stack: false
    .vgpr_count:     25
    .vgpr_spill_count: 0
    .wavefront_size: 64
amdhsa.target:   amdgcn-amd-amdhsa--gfx90a
amdhsa.version:
  - 1
  - 2
...

	.end_amdgpu_metadata
